;; amdgpu-corpus repo=ROCm/rocFFT kind=compiled arch=gfx1100 opt=O3
	.text
	.amdgcn_target "amdgcn-amd-amdhsa--gfx1100"
	.amdhsa_code_object_version 6
	.protected	fft_rtc_fwd_len1848_factors_3_11_7_4_2_wgs_231_tpt_231_halfLds_dp_op_CI_CI_unitstride_sbrr_R2C_dirReg ; -- Begin function fft_rtc_fwd_len1848_factors_3_11_7_4_2_wgs_231_tpt_231_halfLds_dp_op_CI_CI_unitstride_sbrr_R2C_dirReg
	.globl	fft_rtc_fwd_len1848_factors_3_11_7_4_2_wgs_231_tpt_231_halfLds_dp_op_CI_CI_unitstride_sbrr_R2C_dirReg
	.p2align	8
	.type	fft_rtc_fwd_len1848_factors_3_11_7_4_2_wgs_231_tpt_231_halfLds_dp_op_CI_CI_unitstride_sbrr_R2C_dirReg,@function
fft_rtc_fwd_len1848_factors_3_11_7_4_2_wgs_231_tpt_231_halfLds_dp_op_CI_CI_unitstride_sbrr_R2C_dirReg: ; @fft_rtc_fwd_len1848_factors_3_11_7_4_2_wgs_231_tpt_231_halfLds_dp_op_CI_CI_unitstride_sbrr_R2C_dirReg
; %bb.0:
	s_clause 0x2
	s_load_b128 s[8:11], s[0:1], 0x0
	s_load_b128 s[4:7], s[0:1], 0x58
	;; [unrolled: 1-line block ×3, first 2 shown]
	v_mul_u32_u24_e32 v1, 0x11c, v0
	v_mov_b32_e32 v3, 0
	s_delay_alu instid0(VALU_DEP_2) | instskip(NEXT) | instid1(VALU_DEP_1)
	v_lshrrev_b32_e32 v1, 16, v1
	v_add_nc_u32_e32 v5, s15, v1
	v_mov_b32_e32 v1, 0
	v_mov_b32_e32 v2, 0
	;; [unrolled: 1-line block ×3, first 2 shown]
	s_waitcnt lgkmcnt(0)
	v_cmp_lt_u64_e64 s2, s[10:11], 2
	s_delay_alu instid0(VALU_DEP_1)
	s_and_b32 vcc_lo, exec_lo, s2
	s_cbranch_vccnz .LBB0_8
; %bb.1:
	s_load_b64 s[2:3], s[0:1], 0x10
	v_mov_b32_e32 v1, 0
	v_mov_b32_e32 v2, 0
	s_add_u32 s12, s18, 8
	s_addc_u32 s13, s19, 0
	s_add_u32 s14, s16, 8
	s_addc_u32 s15, s17, 0
	v_dual_mov_b32 v57, v2 :: v_dual_mov_b32 v56, v1
	s_mov_b64 s[22:23], 1
	s_waitcnt lgkmcnt(0)
	s_add_u32 s20, s2, 8
	s_addc_u32 s21, s3, 0
.LBB0_2:                                ; =>This Inner Loop Header: Depth=1
	s_load_b64 s[24:25], s[20:21], 0x0
                                        ; implicit-def: $vgpr58_vgpr59
	s_mov_b32 s2, exec_lo
	s_waitcnt lgkmcnt(0)
	v_or_b32_e32 v4, s25, v6
	s_delay_alu instid0(VALU_DEP_1)
	v_cmpx_ne_u64_e32 0, v[3:4]
	s_xor_b32 s3, exec_lo, s2
	s_cbranch_execz .LBB0_4
; %bb.3:                                ;   in Loop: Header=BB0_2 Depth=1
	v_cvt_f32_u32_e32 v4, s24
	v_cvt_f32_u32_e32 v7, s25
	s_sub_u32 s2, 0, s24
	s_subb_u32 s26, 0, s25
	s_delay_alu instid0(VALU_DEP_1) | instskip(NEXT) | instid1(VALU_DEP_1)
	v_fmac_f32_e32 v4, 0x4f800000, v7
	v_rcp_f32_e32 v4, v4
	s_waitcnt_depctr 0xfff
	v_mul_f32_e32 v4, 0x5f7ffffc, v4
	s_delay_alu instid0(VALU_DEP_1) | instskip(NEXT) | instid1(VALU_DEP_1)
	v_mul_f32_e32 v7, 0x2f800000, v4
	v_trunc_f32_e32 v7, v7
	s_delay_alu instid0(VALU_DEP_1) | instskip(SKIP_1) | instid1(VALU_DEP_2)
	v_fmac_f32_e32 v4, 0xcf800000, v7
	v_cvt_u32_f32_e32 v7, v7
	v_cvt_u32_f32_e32 v4, v4
	s_delay_alu instid0(VALU_DEP_2) | instskip(NEXT) | instid1(VALU_DEP_2)
	v_mul_lo_u32 v8, s2, v7
	v_mul_hi_u32 v9, s2, v4
	v_mul_lo_u32 v10, s26, v4
	s_delay_alu instid0(VALU_DEP_2) | instskip(SKIP_1) | instid1(VALU_DEP_2)
	v_add_nc_u32_e32 v8, v9, v8
	v_mul_lo_u32 v9, s2, v4
	v_add_nc_u32_e32 v8, v8, v10
	s_delay_alu instid0(VALU_DEP_2) | instskip(NEXT) | instid1(VALU_DEP_2)
	v_mul_hi_u32 v10, v4, v9
	v_mul_lo_u32 v11, v4, v8
	v_mul_hi_u32 v12, v4, v8
	v_mul_hi_u32 v13, v7, v9
	v_mul_lo_u32 v9, v7, v9
	v_mul_hi_u32 v14, v7, v8
	v_mul_lo_u32 v8, v7, v8
	v_add_co_u32 v10, vcc_lo, v10, v11
	v_add_co_ci_u32_e32 v11, vcc_lo, 0, v12, vcc_lo
	s_delay_alu instid0(VALU_DEP_2) | instskip(NEXT) | instid1(VALU_DEP_2)
	v_add_co_u32 v9, vcc_lo, v10, v9
	v_add_co_ci_u32_e32 v9, vcc_lo, v11, v13, vcc_lo
	v_add_co_ci_u32_e32 v10, vcc_lo, 0, v14, vcc_lo
	s_delay_alu instid0(VALU_DEP_2) | instskip(NEXT) | instid1(VALU_DEP_2)
	v_add_co_u32 v8, vcc_lo, v9, v8
	v_add_co_ci_u32_e32 v9, vcc_lo, 0, v10, vcc_lo
	s_delay_alu instid0(VALU_DEP_2) | instskip(NEXT) | instid1(VALU_DEP_2)
	v_add_co_u32 v4, vcc_lo, v4, v8
	v_add_co_ci_u32_e32 v7, vcc_lo, v7, v9, vcc_lo
	s_delay_alu instid0(VALU_DEP_2) | instskip(SKIP_1) | instid1(VALU_DEP_3)
	v_mul_hi_u32 v8, s2, v4
	v_mul_lo_u32 v10, s26, v4
	v_mul_lo_u32 v9, s2, v7
	s_delay_alu instid0(VALU_DEP_1) | instskip(SKIP_1) | instid1(VALU_DEP_2)
	v_add_nc_u32_e32 v8, v8, v9
	v_mul_lo_u32 v9, s2, v4
	v_add_nc_u32_e32 v8, v8, v10
	s_delay_alu instid0(VALU_DEP_2) | instskip(NEXT) | instid1(VALU_DEP_2)
	v_mul_hi_u32 v10, v4, v9
	v_mul_lo_u32 v11, v4, v8
	v_mul_hi_u32 v12, v4, v8
	v_mul_hi_u32 v13, v7, v9
	v_mul_lo_u32 v9, v7, v9
	v_mul_hi_u32 v14, v7, v8
	v_mul_lo_u32 v8, v7, v8
	v_add_co_u32 v10, vcc_lo, v10, v11
	v_add_co_ci_u32_e32 v11, vcc_lo, 0, v12, vcc_lo
	s_delay_alu instid0(VALU_DEP_2) | instskip(NEXT) | instid1(VALU_DEP_2)
	v_add_co_u32 v9, vcc_lo, v10, v9
	v_add_co_ci_u32_e32 v9, vcc_lo, v11, v13, vcc_lo
	v_add_co_ci_u32_e32 v10, vcc_lo, 0, v14, vcc_lo
	s_delay_alu instid0(VALU_DEP_2) | instskip(NEXT) | instid1(VALU_DEP_2)
	v_add_co_u32 v8, vcc_lo, v9, v8
	v_add_co_ci_u32_e32 v9, vcc_lo, 0, v10, vcc_lo
	s_delay_alu instid0(VALU_DEP_2) | instskip(NEXT) | instid1(VALU_DEP_2)
	v_add_co_u32 v4, vcc_lo, v4, v8
	v_add_co_ci_u32_e32 v13, vcc_lo, v7, v9, vcc_lo
	s_delay_alu instid0(VALU_DEP_2) | instskip(SKIP_1) | instid1(VALU_DEP_3)
	v_mul_hi_u32 v14, v5, v4
	v_mad_u64_u32 v[9:10], null, v6, v4, 0
	v_mad_u64_u32 v[7:8], null, v5, v13, 0
	;; [unrolled: 1-line block ×3, first 2 shown]
	s_delay_alu instid0(VALU_DEP_2) | instskip(NEXT) | instid1(VALU_DEP_3)
	v_add_co_u32 v4, vcc_lo, v14, v7
	v_add_co_ci_u32_e32 v7, vcc_lo, 0, v8, vcc_lo
	s_delay_alu instid0(VALU_DEP_2) | instskip(NEXT) | instid1(VALU_DEP_2)
	v_add_co_u32 v4, vcc_lo, v4, v9
	v_add_co_ci_u32_e32 v4, vcc_lo, v7, v10, vcc_lo
	v_add_co_ci_u32_e32 v7, vcc_lo, 0, v12, vcc_lo
	s_delay_alu instid0(VALU_DEP_2) | instskip(NEXT) | instid1(VALU_DEP_2)
	v_add_co_u32 v4, vcc_lo, v4, v11
	v_add_co_ci_u32_e32 v9, vcc_lo, 0, v7, vcc_lo
	s_delay_alu instid0(VALU_DEP_2) | instskip(SKIP_1) | instid1(VALU_DEP_3)
	v_mul_lo_u32 v10, s25, v4
	v_mad_u64_u32 v[7:8], null, s24, v4, 0
	v_mul_lo_u32 v11, s24, v9
	s_delay_alu instid0(VALU_DEP_2) | instskip(NEXT) | instid1(VALU_DEP_2)
	v_sub_co_u32 v7, vcc_lo, v5, v7
	v_add3_u32 v8, v8, v11, v10
	s_delay_alu instid0(VALU_DEP_1) | instskip(NEXT) | instid1(VALU_DEP_1)
	v_sub_nc_u32_e32 v10, v6, v8
	v_subrev_co_ci_u32_e64 v10, s2, s25, v10, vcc_lo
	v_add_co_u32 v11, s2, v4, 2
	s_delay_alu instid0(VALU_DEP_1) | instskip(SKIP_3) | instid1(VALU_DEP_3)
	v_add_co_ci_u32_e64 v12, s2, 0, v9, s2
	v_sub_co_u32 v13, s2, v7, s24
	v_sub_co_ci_u32_e32 v8, vcc_lo, v6, v8, vcc_lo
	v_subrev_co_ci_u32_e64 v10, s2, 0, v10, s2
	v_cmp_le_u32_e32 vcc_lo, s24, v13
	s_delay_alu instid0(VALU_DEP_3) | instskip(SKIP_1) | instid1(VALU_DEP_4)
	v_cmp_eq_u32_e64 s2, s25, v8
	v_cndmask_b32_e64 v13, 0, -1, vcc_lo
	v_cmp_le_u32_e32 vcc_lo, s25, v10
	v_cndmask_b32_e64 v14, 0, -1, vcc_lo
	v_cmp_le_u32_e32 vcc_lo, s24, v7
	;; [unrolled: 2-line block ×3, first 2 shown]
	v_cndmask_b32_e64 v15, 0, -1, vcc_lo
	v_cmp_eq_u32_e32 vcc_lo, s25, v10
	s_delay_alu instid0(VALU_DEP_2) | instskip(SKIP_3) | instid1(VALU_DEP_3)
	v_cndmask_b32_e64 v7, v15, v7, s2
	v_cndmask_b32_e32 v10, v14, v13, vcc_lo
	v_add_co_u32 v13, vcc_lo, v4, 1
	v_add_co_ci_u32_e32 v14, vcc_lo, 0, v9, vcc_lo
	v_cmp_ne_u32_e32 vcc_lo, 0, v10
	s_delay_alu instid0(VALU_DEP_2) | instskip(NEXT) | instid1(VALU_DEP_4)
	v_cndmask_b32_e32 v8, v14, v12, vcc_lo
	v_cndmask_b32_e32 v10, v13, v11, vcc_lo
	v_cmp_ne_u32_e32 vcc_lo, 0, v7
	s_delay_alu instid0(VALU_DEP_2)
	v_dual_cndmask_b32 v59, v9, v8 :: v_dual_cndmask_b32 v58, v4, v10
.LBB0_4:                                ;   in Loop: Header=BB0_2 Depth=1
	s_and_not1_saveexec_b32 s2, s3
	s_cbranch_execz .LBB0_6
; %bb.5:                                ;   in Loop: Header=BB0_2 Depth=1
	v_cvt_f32_u32_e32 v4, s24
	s_sub_i32 s3, 0, s24
	v_mov_b32_e32 v59, v3
	s_delay_alu instid0(VALU_DEP_2) | instskip(SKIP_2) | instid1(VALU_DEP_1)
	v_rcp_iflag_f32_e32 v4, v4
	s_waitcnt_depctr 0xfff
	v_mul_f32_e32 v4, 0x4f7ffffe, v4
	v_cvt_u32_f32_e32 v4, v4
	s_delay_alu instid0(VALU_DEP_1) | instskip(NEXT) | instid1(VALU_DEP_1)
	v_mul_lo_u32 v7, s3, v4
	v_mul_hi_u32 v7, v4, v7
	s_delay_alu instid0(VALU_DEP_1) | instskip(NEXT) | instid1(VALU_DEP_1)
	v_add_nc_u32_e32 v4, v4, v7
	v_mul_hi_u32 v4, v5, v4
	s_delay_alu instid0(VALU_DEP_1) | instskip(SKIP_1) | instid1(VALU_DEP_2)
	v_mul_lo_u32 v7, v4, s24
	v_add_nc_u32_e32 v8, 1, v4
	v_sub_nc_u32_e32 v7, v5, v7
	s_delay_alu instid0(VALU_DEP_1) | instskip(SKIP_1) | instid1(VALU_DEP_2)
	v_subrev_nc_u32_e32 v9, s24, v7
	v_cmp_le_u32_e32 vcc_lo, s24, v7
	v_dual_cndmask_b32 v7, v7, v9 :: v_dual_cndmask_b32 v4, v4, v8
	s_delay_alu instid0(VALU_DEP_1) | instskip(NEXT) | instid1(VALU_DEP_2)
	v_cmp_le_u32_e32 vcc_lo, s24, v7
	v_add_nc_u32_e32 v8, 1, v4
	s_delay_alu instid0(VALU_DEP_1)
	v_cndmask_b32_e32 v58, v4, v8, vcc_lo
.LBB0_6:                                ;   in Loop: Header=BB0_2 Depth=1
	s_or_b32 exec_lo, exec_lo, s2
	s_delay_alu instid0(VALU_DEP_1) | instskip(NEXT) | instid1(VALU_DEP_2)
	v_mul_lo_u32 v4, v59, s24
	v_mul_lo_u32 v9, v58, s25
	s_load_b64 s[2:3], s[14:15], 0x0
	v_mad_u64_u32 v[7:8], null, v58, s24, 0
	s_load_b64 s[24:25], s[12:13], 0x0
	s_add_u32 s22, s22, 1
	s_addc_u32 s23, s23, 0
	s_add_u32 s12, s12, 8
	s_addc_u32 s13, s13, 0
	s_add_u32 s14, s14, 8
	s_delay_alu instid0(VALU_DEP_1) | instskip(SKIP_3) | instid1(VALU_DEP_2)
	v_add3_u32 v4, v8, v9, v4
	v_sub_co_u32 v8, vcc_lo, v5, v7
	s_addc_u32 s15, s15, 0
	s_add_u32 s20, s20, 8
	v_sub_co_ci_u32_e32 v6, vcc_lo, v6, v4, vcc_lo
	s_addc_u32 s21, s21, 0
	s_waitcnt lgkmcnt(0)
	s_delay_alu instid0(VALU_DEP_1)
	v_mul_lo_u32 v9, s2, v6
	v_mul_lo_u32 v10, s3, v8
	v_mad_u64_u32 v[4:5], null, s2, v8, v[1:2]
	v_mul_lo_u32 v11, s24, v6
	v_mul_lo_u32 v12, s25, v8
	v_mad_u64_u32 v[6:7], null, s24, v8, v[56:57]
	v_cmp_ge_u64_e64 s2, s[22:23], s[10:11]
	v_add3_u32 v2, v10, v5, v9
	s_delay_alu instid0(VALU_DEP_3) | instskip(NEXT) | instid1(VALU_DEP_4)
	v_dual_mov_b32 v1, v4 :: v_dual_mov_b32 v56, v6
	v_add3_u32 v57, v12, v7, v11
	s_delay_alu instid0(VALU_DEP_4)
	s_and_b32 vcc_lo, exec_lo, s2
	s_cbranch_vccnz .LBB0_9
; %bb.7:                                ;   in Loop: Header=BB0_2 Depth=1
	v_dual_mov_b32 v5, v58 :: v_dual_mov_b32 v6, v59
	s_branch .LBB0_2
.LBB0_8:
	v_dual_mov_b32 v57, v2 :: v_dual_mov_b32 v56, v1
	v_dual_mov_b32 v59, v6 :: v_dual_mov_b32 v58, v5
.LBB0_9:
	s_load_b64 s[0:1], s[0:1], 0x28
	v_mul_hi_u32 v3, 0x11bb4a5, v0
	s_lshl_b64 s[10:11], s[10:11], 3
                                        ; implicit-def: $vgpr60
                                        ; implicit-def: $vgpr64
                                        ; implicit-def: $vgpr62
	s_delay_alu instid0(SALU_CYCLE_1) | instskip(SKIP_4) | instid1(VALU_DEP_1)
	s_add_u32 s2, s18, s10
	s_addc_u32 s3, s19, s11
	s_waitcnt lgkmcnt(0)
	v_cmp_gt_u64_e32 vcc_lo, s[0:1], v[58:59]
	v_cmp_le_u64_e64 s0, s[0:1], v[58:59]
	s_and_saveexec_b32 s1, s0
	s_delay_alu instid0(SALU_CYCLE_1)
	s_xor_b32 s0, exec_lo, s1
; %bb.10:
	v_mul_u32_u24_e32 v1, 0xe7, v3
                                        ; implicit-def: $vgpr3
	s_delay_alu instid0(VALU_DEP_1) | instskip(NEXT) | instid1(VALU_DEP_1)
	v_sub_nc_u32_e32 v60, v0, v1
                                        ; implicit-def: $vgpr0
                                        ; implicit-def: $vgpr1_vgpr2
	v_add_nc_u32_e32 v64, 0xe7, v60
	v_add_nc_u32_e32 v62, 0x1ce, v60
; %bb.11:
	s_and_not1_saveexec_b32 s1, s0
	s_cbranch_execz .LBB0_13
; %bb.12:
	s_add_u32 s10, s16, s10
	s_addc_u32 s11, s17, s11
	v_lshlrev_b64 v[1:2], 4, v[1:2]
	s_load_b64 s[10:11], s[10:11], 0x0
	s_waitcnt lgkmcnt(0)
	v_mul_lo_u32 v6, s11, v58
	v_mul_lo_u32 v7, s10, v59
	v_mad_u64_u32 v[4:5], null, s10, v58, 0
	s_delay_alu instid0(VALU_DEP_1) | instskip(SKIP_1) | instid1(VALU_DEP_2)
	v_add3_u32 v5, v5, v7, v6
	v_mul_u32_u24_e32 v6, 0xe7, v3
	v_lshlrev_b64 v[3:4], 4, v[4:5]
	s_delay_alu instid0(VALU_DEP_2) | instskip(NEXT) | instid1(VALU_DEP_1)
	v_sub_nc_u32_e32 v60, v0, v6
	v_lshlrev_b32_e32 v32, 4, v60
	s_delay_alu instid0(VALU_DEP_3) | instskip(NEXT) | instid1(VALU_DEP_1)
	v_add_co_u32 v0, s0, s4, v3
	v_add_co_ci_u32_e64 v3, s0, s5, v4, s0
	v_add_nc_u32_e32 v64, 0xe7, v60
	s_delay_alu instid0(VALU_DEP_3) | instskip(NEXT) | instid1(VALU_DEP_1)
	v_add_co_u32 v0, s0, v0, v1
	v_add_co_ci_u32_e64 v1, s0, v3, v2, s0
	v_add_nc_u32_e32 v62, 0x1ce, v60
	s_delay_alu instid0(VALU_DEP_3) | instskip(NEXT) | instid1(VALU_DEP_1)
	v_add_co_u32 v8, s0, v0, v32
	v_add_co_ci_u32_e64 v9, s0, 0, v1, s0
	s_clause 0x1
	global_load_b128 v[0:3], v[8:9], off
	global_load_b128 v[4:7], v[8:9], off offset:3696
	v_add_co_u32 v10, s0, 0x1000, v8
	s_delay_alu instid0(VALU_DEP_1) | instskip(SKIP_1) | instid1(VALU_DEP_1)
	v_add_co_ci_u32_e64 v11, s0, 0, v9, s0
	v_add_co_u32 v12, s0, 0x2000, v8
	v_add_co_ci_u32_e64 v13, s0, 0, v9, s0
	v_add_co_u32 v16, s0, 0x3000, v8
	s_delay_alu instid0(VALU_DEP_1) | instskip(SKIP_1) | instid1(VALU_DEP_1)
	v_add_co_ci_u32_e64 v17, s0, 0, v9, s0
	v_add_co_u32 v20, s0, 0x4000, v8
	v_add_co_ci_u32_e64 v21, s0, 0, v9, s0
	;; [unrolled: 5-line block ×3, first 2 shown]
	s_clause 0x5
	global_load_b128 v[8:11], v[10:11], off offset:3296
	global_load_b128 v[12:15], v[12:13], off offset:2896
	;; [unrolled: 1-line block ×6, first 2 shown]
	v_add_nc_u32_e32 v32, 0, v32
	s_waitcnt vmcnt(7)
	ds_store_b128 v32, v[0:3]
	s_waitcnt vmcnt(6)
	ds_store_b128 v32, v[4:7] offset:3696
	s_waitcnt vmcnt(5)
	ds_store_b128 v32, v[8:11] offset:7392
	s_waitcnt vmcnt(4)
	ds_store_b128 v32, v[12:15] offset:11088
	s_waitcnt vmcnt(3)
	ds_store_b128 v32, v[16:19] offset:14784
	s_waitcnt vmcnt(2)
	ds_store_b128 v32, v[20:23] offset:18480
	s_waitcnt vmcnt(1)
	ds_store_b128 v32, v[24:27] offset:22176
	s_waitcnt vmcnt(0)
	ds_store_b128 v32, v[28:31] offset:25872
.LBB0_13:
	s_or_b32 exec_lo, exec_lo, s1
	v_lshl_add_u32 v189, v60, 4, 0
	s_load_b64 s[2:3], s[2:3], 0x0
	s_waitcnt lgkmcnt(0)
	s_barrier
	buffer_gl0_inv
	ds_load_b128 v[0:3], v189 offset:9856
	ds_load_b128 v[4:7], v189 offset:19712
	;; [unrolled: 1-line block ×7, first 2 shown]
	ds_load_b128 v[28:31], v189
	ds_load_b128 v[32:35], v189 offset:3696
	s_mov_b32 s0, 0xe8584caa
	s_mov_b32 s1, 0x3febb67a
	;; [unrolled: 1-line block ×4, first 2 shown]
	s_waitcnt lgkmcnt(0)
	s_barrier
	buffer_gl0_inv
	v_add_f64 v[36:37], v[0:1], v[4:5]
	v_add_f64 v[38:39], v[2:3], v[6:7]
	;; [unrolled: 1-line block ×7, first 2 shown]
	v_add_f64 v[50:51], v[2:3], -v[6:7]
	v_add_f64 v[2:3], v[30:31], v[2:3]
	v_add_f64 v[52:53], v[32:33], v[12:13]
	;; [unrolled: 1-line block ×5, first 2 shown]
	v_add_f64 v[0:1], v[0:1], -v[4:5]
	v_add_f64 v[14:15], v[14:15], -v[10:11]
	v_add_f64 v[18:19], v[18:19], -v[26:27]
	v_fma_f64 v[28:29], v[36:37], -0.5, v[28:29]
	v_fma_f64 v[30:31], v[38:39], -0.5, v[30:31]
	v_fma_f64 v[36:37], v[40:41], -0.5, v[32:33]
	v_add_f64 v[38:39], v[12:13], -v[8:9]
	v_fma_f64 v[40:41], v[42:43], -0.5, v[34:35]
	v_fma_f64 v[42:43], v[44:45], -0.5, v[20:21]
	v_add_f64 v[44:45], v[16:17], -v[24:25]
	v_fma_f64 v[46:47], v[46:47], -0.5, v[22:23]
	v_add_f64 v[4:5], v[48:49], v[4:5]
	v_add_f64 v[6:7], v[2:3], v[6:7]
	;; [unrolled: 1-line block ×6, first 2 shown]
	v_fma_f64 v[32:33], v[50:51], s[0:1], v[28:29]
	v_fma_f64 v[28:29], v[50:51], s[4:5], v[28:29]
	;; [unrolled: 1-line block ×12, first 2 shown]
	v_lshl_add_u32 v37, v60, 5, v189
	v_mad_i32_i24 v36, v64, 48, 0
	s_mov_b32 s1, exec_lo
	ds_store_b128 v37, v[4:7]
	ds_store_b128 v37, v[32:35] offset:16
	ds_store_b128 v37, v[28:31] offset:32
	ds_store_b128 v36, v[20:23]
	ds_store_b128 v36, v[12:15] offset:16
	ds_store_b128 v36, v[0:3] offset:32
	v_cmpx_gt_u32_e32 0x9a, v60
	s_cbranch_execz .LBB0_15
; %bb.14:
	v_mad_i32_i24 v36, v62, 48, 0
	ds_store_b128 v36, v[8:11]
	ds_store_b128 v36, v[16:19] offset:16
	ds_store_b128 v36, v[24:27] offset:32
.LBB0_15:
	s_or_b32 exec_lo, exec_lo, s1
	v_cmp_gt_u32_e64 s0, 0xa8, v60
	s_waitcnt lgkmcnt(0)
	s_barrier
	buffer_gl0_inv
                                        ; implicit-def: $vgpr42_vgpr43
                                        ; implicit-def: $vgpr38_vgpr39
	s_and_saveexec_b32 s1, s0
	s_cbranch_execz .LBB0_17
; %bb.16:
	ds_load_b128 v[4:7], v189
	ds_load_b128 v[32:35], v189 offset:2688
	ds_load_b128 v[28:31], v189 offset:5376
	;; [unrolled: 1-line block ×10, first 2 shown]
.LBB0_17:
	s_or_b32 exec_lo, exec_lo, s1
	v_and_b32_e32 v61, 0xff, v60
	s_mov_b32 s14, 0xf8bb580b
	s_mov_b32 s4, 0x8eee2c13
	;; [unrolled: 1-line block ×4, first 2 shown]
	v_mul_lo_u16 v44, 0xab, v61
	s_mov_b32 s15, 0xbfe14ced
	s_mov_b32 s5, 0xbfed1bb4
	;; [unrolled: 1-line block ×4, first 2 shown]
	v_lshrrev_b16 v63, 9, v44
	s_mov_b32 s10, 0x8764f0ba
	s_mov_b32 s22, 0xd9c712b6
	;; [unrolled: 1-line block ×4, first 2 shown]
	v_mul_lo_u16 v44, v63, 3
	s_mov_b32 s30, 0xfd768dbf
	s_mov_b32 s11, 0x3feaeb8c
	;; [unrolled: 1-line block ×4, first 2 shown]
	v_sub_nc_u16 v44, v60, v44
	s_mov_b32 s25, 0xbfe4f49e
	s_mov_b32 s31, 0x3fd207e7
	;; [unrolled: 1-line block ×4, first 2 shown]
	v_and_b32_e32 v190, 0xff, v44
	s_mov_b32 s28, 0x9bcd5057
	s_mov_b32 s29, 0xbfeeb42a
	;; [unrolled: 1-line block ×4, first 2 shown]
	v_mul_u32_u24_e32 v44, 10, v190
	s_mov_b32 s35, 0xbfd207e7
	s_mov_b32 s34, s30
	;; [unrolled: 1-line block ×4, first 2 shown]
	v_lshlrev_b32_e32 v44, 4, v44
	s_clause 0x9
	global_load_b128 v[46:49], v44, s[8:9]
	global_load_b128 v[50:53], v44, s[8:9] offset:144
	global_load_b128 v[65:68], v44, s[8:9] offset:16
	;; [unrolled: 1-line block ×9, first 2 shown]
	s_waitcnt vmcnt(0) lgkmcnt(0)
	s_barrier
	buffer_gl0_inv
	v_mul_f64 v[44:45], v[32:33], v[48:49]
	v_mul_f64 v[54:55], v[40:41], v[52:53]
	;; [unrolled: 1-line block ×8, first 2 shown]
	v_fma_f64 v[44:45], v[34:35], v[46:47], v[44:45]
	v_fma_f64 v[34:35], v[42:43], v[50:51], v[54:55]
	v_fma_f64 v[42:43], v[32:33], v[46:47], -v[48:49]
	v_fma_f64 v[32:33], v[40:41], v[50:51], -v[52:53]
	v_mul_f64 v[48:49], v[22:23], v[75:76]
	v_mul_f64 v[50:51], v[20:21], v[75:76]
	;; [unrolled: 1-line block ×4, first 2 shown]
	v_fma_f64 v[40:41], v[28:29], v[65:66], -v[85:86]
	v_fma_f64 v[46:47], v[30:31], v[65:66], v[67:68]
	v_fma_f64 v[30:31], v[38:39], v[69:70], v[99:100]
	v_fma_f64 v[28:29], v[36:37], v[69:70], -v[71:72]
	v_mul_f64 v[69:70], v[14:15], v[83:84]
	v_mul_f64 v[71:72], v[12:13], v[83:84]
	;; [unrolled: 1-line block ×6, first 2 shown]
	v_add_f64 v[38:39], v[44:45], -v[34:35]
	v_add_f64 v[67:68], v[44:45], v[34:35]
	v_add_f64 v[36:37], v[42:43], -v[32:33]
	v_fma_f64 v[48:49], v[20:21], v[73:74], -v[48:49]
	v_fma_f64 v[50:51], v[22:23], v[73:74], v[50:51]
	v_fma_f64 v[20:21], v[26:27], v[77:78], v[52:53]
	v_fma_f64 v[22:23], v[24:25], v[77:78], -v[54:55]
	v_add_f64 v[54:55], v[42:43], v[32:33]
	v_mul_f64 v[77:78], v[2:3], v[93:94]
	v_add_f64 v[26:27], v[46:47], -v[30:31]
	v_add_f64 v[24:25], v[40:41], -v[28:29]
	v_mul_f64 v[93:94], v[0:1], v[93:94]
	v_fma_f64 v[177:178], v[12:13], v[81:82], -v[69:70]
	v_fma_f64 v[183:184], v[14:15], v[81:82], v[71:72]
	v_fma_f64 v[71:72], v[18:19], v[87:88], v[89:90]
	v_fma_f64 v[69:70], v[16:17], v[87:88], -v[79:80]
	v_add_f64 v[151:152], v[40:41], v[28:29]
	v_add_f64 v[181:182], v[46:47], v[30:31]
	v_fma_f64 v[155:156], v[8:9], v[95:96], -v[99:100]
	v_fma_f64 v[163:164], v[10:11], v[95:96], v[97:98]
	v_mul_f64 v[52:53], v[38:39], s[14:15]
	v_mul_f64 v[73:74], v[38:39], s[4:5]
	;; [unrolled: 1-line block ×8, first 2 shown]
	v_add_f64 v[149:150], v[50:51], -v[20:21]
	v_add_f64 v[79:80], v[48:49], -v[22:23]
	v_mul_f64 v[135:136], v[26:27], s[4:5]
	v_mul_f64 v[137:138], v[24:25], s[4:5]
	;; [unrolled: 1-line block ×8, first 2 shown]
	v_fma_f64 v[185:186], v[0:1], v[91:92], -v[77:78]
	v_fma_f64 v[187:188], v[2:3], v[91:92], v[93:94]
	v_add_f64 v[105:106], v[48:49], v[22:23]
	v_add_f64 v[179:180], v[50:51], v[20:21]
	v_add_f64 v[129:130], v[183:184], -v[71:72]
	v_add_f64 v[77:78], v[177:178], -v[69:70]
	v_add_f64 v[93:94], v[177:178], v[69:70]
	v_add_f64 v[175:176], v[183:184], v[71:72]
	v_fma_f64 v[12:13], v[54:55], s[10:11], v[52:53]
	v_fma_f64 v[16:17], v[54:55], s[22:23], v[73:74]
	v_fma_f64 v[14:15], v[67:68], s[10:11], -v[65:66]
	v_fma_f64 v[18:19], v[67:68], s[22:23], -v[75:76]
	v_fma_f64 v[81:82], v[54:55], s[18:19], v[83:84]
	v_fma_f64 v[87:88], v[67:68], s[18:19], -v[85:86]
	v_fma_f64 v[89:90], v[54:55], s[24:25], v[145:146]
	v_fma_f64 v[101:102], v[67:68], s[24:25], -v[169:170]
	v_mul_f64 v[91:92], v[149:150], s[12:13]
	v_mul_f64 v[99:100], v[79:80], s[12:13]
	;; [unrolled: 1-line block ×8, first 2 shown]
	v_fma_f64 v[0:1], v[151:152], s[22:23], v[135:136]
	v_fma_f64 v[2:3], v[181:182], s[22:23], -v[137:138]
	v_fma_f64 v[8:9], v[151:152], s[24:25], v[147:148]
	v_fma_f64 v[10:11], v[181:182], s[24:25], -v[153:154]
	;; [unrolled: 2-line block ×4, first 2 shown]
	v_add_f64 v[119:120], v[187:188], -v[163:164]
	v_mul_f64 v[95:96], v[129:130], s[20:21]
	v_mul_f64 v[109:110], v[129:130], s[14:15]
	;; [unrolled: 1-line block ×5, first 2 shown]
	v_add_f64 v[173:174], v[187:188], v[163:164]
	v_add_f64 v[12:13], v[4:5], v[12:13]
	;; [unrolled: 1-line block ×9, first 2 shown]
	v_add_f64 v[81:82], v[185:186], -v[155:156]
	v_mul_f64 v[87:88], v[129:130], s[16:17]
	v_mul_f64 v[89:90], v[77:78], s[16:17]
	;; [unrolled: 1-line block ×3, first 2 shown]
	v_fma_f64 v[191:192], v[105:106], s[18:19], v[91:92]
	v_fma_f64 v[193:194], v[179:180], s[18:19], -v[99:100]
	v_fma_f64 v[195:196], v[105:106], s[28:29], v[107:108]
	v_fma_f64 v[197:198], v[179:180], s[28:29], -v[113:114]
	v_fma_f64 v[199:200], v[105:106], s[22:23], v[123:124]
	v_fma_f64 v[211:212], v[93:94], s[18:19], v[95:96]
	;; [unrolled: 1-line block ×3, first 2 shown]
	v_add_f64 v[0:1], v[0:1], v[12:13]
	v_fma_f64 v[12:13], v[179:180], s[22:23], -v[127:128]
	v_add_f64 v[2:3], v[2:3], v[14:15]
	v_fma_f64 v[14:15], v[105:106], s[10:11], v[139:140]
	v_add_f64 v[8:9], v[8:9], v[16:17]
	v_fma_f64 v[16:17], v[179:180], s[10:11], -v[157:158]
	v_add_f64 v[10:11], v[10:11], v[18:19]
	v_add_f64 v[18:19], v[97:98], v[121:122]
	;; [unrolled: 1-line block ×6, first 2 shown]
	v_mul_f64 v[97:98], v[119:120], s[34:35]
	v_mul_f64 v[103:104], v[81:82], s[34:35]
	;; [unrolled: 1-line block ×8, first 2 shown]
	v_fma_f64 v[207:208], v[93:94], s[24:25], v[87:88]
	v_fma_f64 v[209:210], v[175:176], s[24:25], -v[89:90]
	v_fma_f64 v[213:214], v[175:176], s[18:19], -v[101:102]
	v_add_f64 v[0:1], v[191:192], v[0:1]
	v_fma_f64 v[191:192], v[175:176], s[10:11], -v[115:116]
	v_add_f64 v[2:3], v[193:194], v[2:3]
	v_fma_f64 v[193:194], v[93:94], s[28:29], v[131:132]
	v_add_f64 v[8:9], v[195:196], v[8:9]
	v_fma_f64 v[195:196], v[175:176], s[28:29], -v[141:142]
	v_add_f64 v[10:11], v[197:198], v[10:11]
	v_add_f64 v[18:19], v[199:200], v[18:19]
	;; [unrolled: 1-line block ×5, first 2 shown]
	v_fma_f64 v[197:198], v[117:118], s[28:29], v[97:98]
	v_fma_f64 v[199:200], v[173:174], s[28:29], -v[103:104]
	v_fma_f64 v[201:202], v[117:118], s[10:11], v[111:112]
	v_fma_f64 v[203:204], v[173:174], s[10:11], -v[121:122]
	v_fma_f64 v[205:206], v[117:118], s[24:25], v[125:126]
	v_add_f64 v[0:1], v[207:208], v[0:1]
	v_fma_f64 v[207:208], v[173:174], s[24:25], -v[133:134]
	v_add_f64 v[2:3], v[209:210], v[2:3]
	v_fma_f64 v[209:210], v[117:118], s[22:23], v[143:144]
	v_add_f64 v[8:9], v[211:212], v[8:9]
	v_fma_f64 v[211:212], v[173:174], s[22:23], -v[161:162]
	v_add_f64 v[10:11], v[213:214], v[10:11]
	v_add_f64 v[213:214], v[215:216], v[18:19]
	;; [unrolled: 1-line block ×13, first 2 shown]
	s_and_saveexec_b32 s1, s0
	s_cbranch_execz .LBB0_19
; %bb.18:
	v_add_f64 v[44:45], v[6:7], v[44:45]
	v_add_f64 v[42:43], v[4:5], v[42:43]
	v_mul_f64 v[191:192], v[54:55], s[22:23]
	v_mul_f64 v[193:194], v[54:55], s[18:19]
	;; [unrolled: 1-line block ×15, first 2 shown]
	v_add_f64 v[44:45], v[44:45], v[46:47]
	v_add_f64 v[40:41], v[42:43], v[40:41]
	v_mul_f64 v[46:47], v[67:68], s[24:25]
	v_fma_f64 v[213:214], v[54:55], s[28:29], v[38:39]
	v_fma_f64 v[38:39], v[54:55], s[28:29], -v[38:39]
	v_add_f64 v[52:53], v[197:198], -v[52:53]
	v_add_f64 v[165:166], v[165:166], v[201:202]
	v_add_f64 v[153:154], v[153:154], v[205:206]
	v_add_f64 v[147:148], v[207:208], -v[147:148]
	v_add_f64 v[159:160], v[203:204], -v[159:160]
	;; [unrolled: 1-line block ×4, first 2 shown]
	v_mul_f64 v[197:198], v[175:176], s[28:29]
	v_fma_f64 v[201:202], v[105:106], s[24:25], v[149:150]
	v_add_f64 v[42:43], v[44:45], v[50:51]
	v_add_f64 v[40:41], v[40:41], v[48:49]
	v_mul_f64 v[44:45], v[67:68], s[28:29]
	v_mul_f64 v[48:49], v[67:68], s[18:19]
	;; [unrolled: 1-line block ×4, first 2 shown]
	v_add_f64 v[38:39], v[4:5], v[38:39]
	v_add_f64 v[42:43], v[42:43], v[183:184]
	;; [unrolled: 1-line block ×3, first 2 shown]
	v_mul_f64 v[177:178], v[181:182], s[10:11]
	v_mul_f64 v[183:184], v[181:182], s[18:19]
	v_fma_f64 v[211:212], v[36:37], s[30:31], v[44:45]
	v_fma_f64 v[36:37], v[36:37], s[34:35], v[44:45]
	v_add_f64 v[44:45], v[169:170], v[46:47]
	v_add_f64 v[46:47], v[85:86], v[48:49]
	v_add_f64 v[48:49], v[75:76], v[50:51]
	v_add_f64 v[50:51], v[191:192], -v[73:74]
	v_add_f64 v[73:74], v[193:194], -v[83:84]
	;; [unrolled: 1-line block ×3, first 2 shown]
	v_mul_f64 v[181:182], v[181:182], s[22:23]
	v_add_f64 v[54:55], v[65:66], v[67:68]
	v_mul_f64 v[65:66], v[105:106], s[18:19]
	v_mul_f64 v[67:68], v[179:180], s[18:19]
	;; [unrolled: 1-line block ×5, first 2 shown]
	v_fma_f64 v[193:194], v[151:152], s[10:11], v[26:27]
	v_fma_f64 v[26:27], v[151:152], s[10:11], -v[26:27]
	v_mul_f64 v[145:146], v[105:106], s[22:23]
	v_mul_f64 v[195:196], v[93:94], s[28:29]
	v_add_f64 v[42:43], v[42:43], v[187:188]
	v_add_f64 v[40:41], v[40:41], v[185:186]
	v_mul_f64 v[187:188], v[179:180], s[10:11]
	v_mul_f64 v[179:180], v[179:180], s[24:25]
	v_fma_f64 v[191:192], v[24:25], s[14:15], v[177:178]
	v_fma_f64 v[24:25], v[24:25], s[36:37], v[177:178]
	v_add_f64 v[151:152], v[171:172], v[183:184]
	v_add_f64 v[171:172], v[6:7], v[211:212]
	;; [unrolled: 1-line block ×8, first 2 shown]
	v_mul_f64 v[185:186], v[105:106], s[10:11]
	v_add_f64 v[75:76], v[4:5], v[75:76]
	v_add_f64 v[177:178], v[4:5], v[213:214]
	;; [unrolled: 1-line block ×5, first 2 shown]
	s_mov_b32 s15, 0x3fe82f19
	s_mov_b32 s14, s16
	v_mul_f64 v[52:53], v[93:94], s[24:25]
	v_mul_f64 v[54:55], v[175:176], s[24:25]
	;; [unrolled: 1-line block ×3, first 2 shown]
	v_fma_f64 v[105:106], v[105:106], s[24:25], -v[149:150]
	v_add_f64 v[85:86], v[113:114], v[85:86]
	v_add_f64 v[83:84], v[83:84], -v[107:108]
	v_add_f64 v[65:66], v[65:66], -v[91:92]
	v_mul_f64 v[181:182], v[93:94], s[10:11]
	v_add_f64 v[127:128], v[127:128], v[169:170]
	v_add_f64 v[123:124], v[145:146], -v[123:124]
	v_add_f64 v[26:27], v[26:27], v[38:39]
	v_add_f64 v[67:68], v[99:100], v[67:68]
	v_mul_f64 v[145:146], v[173:174], s[18:19]
	v_mul_f64 v[107:108], v[117:118], s[24:25]
	;; [unrolled: 1-line block ×3, first 2 shown]
	v_add_f64 v[131:132], v[195:196], -v[131:132]
	v_add_f64 v[42:43], v[42:43], v[163:164]
	v_add_f64 v[40:41], v[40:41], v[155:156]
	v_mul_f64 v[155:156], v[93:94], s[18:19]
	v_mul_f64 v[163:164], v[175:176], s[18:19]
	;; [unrolled: 1-line block ×3, first 2 shown]
	v_fma_f64 v[199:200], v[79:80], s[14:15], v[179:180]
	v_add_f64 v[149:150], v[157:158], v[187:188]
	v_add_f64 v[91:92], v[191:192], v[171:172]
	;; [unrolled: 1-line block ×8, first 2 shown]
	v_fma_f64 v[79:80], v[79:80], s[16:17], v[179:180]
	v_add_f64 v[139:140], v[185:186], -v[139:140]
	v_add_f64 v[73:74], v[167:168], v[75:76]
	v_add_f64 v[99:100], v[193:194], v[177:178]
	;; [unrolled: 1-line block ×4, first 2 shown]
	v_mul_f64 v[75:76], v[173:174], s[10:11]
	v_mul_f64 v[137:138], v[173:174], s[22:23]
	v_fma_f64 v[151:152], v[93:94], s[22:23], v[129:130]
	v_fma_f64 v[93:94], v[93:94], s[22:23], -v[129:130]
	v_add_f64 v[129:130], v[141:142], v[197:198]
	v_add_f64 v[52:53], v[52:53], -v[87:88]
	v_add_f64 v[115:116], v[115:116], v[183:184]
	v_mul_f64 v[135:136], v[117:118], s[22:23]
	v_add_f64 v[54:55], v[89:90], v[54:55]
	v_add_f64 v[109:110], v[181:182], -v[109:110]
	v_add_f64 v[26:27], v[105:106], v[26:27]
	v_add_f64 v[38:39], v[42:43], v[71:72]
	;; [unrolled: 1-line block ×3, first 2 shown]
	v_mul_f64 v[42:43], v[117:118], s[28:29]
	v_mul_f64 v[71:72], v[117:118], s[10:11]
	v_fma_f64 v[147:148], v[77:78], s[4:5], v[175:176]
	v_add_f64 v[101:102], v[101:102], v[163:164]
	v_add_f64 v[95:96], v[155:156], -v[95:96]
	v_add_f64 v[87:88], v[199:200], v[91:92]
	v_fma_f64 v[77:78], v[77:78], s[26:27], v[175:176]
	v_add_f64 v[36:37], v[149:150], v[36:37]
	v_add_f64 v[44:45], v[127:128], v[44:45]
	;; [unrolled: 1-line block ×6, first 2 shown]
	v_mul_f64 v[69:70], v[173:174], s[28:29]
	v_add_f64 v[73:74], v[139:140], v[73:74]
	v_add_f64 v[89:90], v[201:202], v[99:100]
	;; [unrolled: 1-line block ×7, first 2 shown]
	v_add_f64 v[85:86], v[107:108], -v[125:126]
	v_fma_f64 v[65:66], v[81:82], s[12:13], v[145:146]
	v_fma_f64 v[67:68], v[117:118], s[18:19], -v[119:120]
	v_add_f64 v[20:21], v[38:39], v[20:21]
	v_add_f64 v[22:23], v[40:41], v[22:23]
	v_fma_f64 v[38:39], v[81:82], s[20:21], v[145:146]
	v_add_f64 v[71:72], v[71:72], -v[111:112]
	v_add_f64 v[91:92], v[42:43], -v[97:98]
	;; [unrolled: 1-line block ×3, first 2 shown]
	v_fma_f64 v[40:41], v[117:118], s[18:19], v[119:120]
	v_add_f64 v[42:43], v[147:148], v[87:88]
	v_add_f64 v[36:37], v[129:130], v[36:37]
	;; [unrolled: 1-line block ×25, first 2 shown]
	v_and_b32_e32 v44, 0xffff, v63
	v_add_f64 v[42:43], v[69:70], v[54:55]
	v_add_f64 v[40:41], v[91:92], v[52:53]
	v_lshlrev_b32_e32 v45, 4, v190
	s_delay_alu instid0(VALU_DEP_4) | instskip(NEXT) | instid1(VALU_DEP_1)
	v_mul_u32_u24_e32 v44, 0x210, v44
	v_add3_u32 v44, 0, v44, v45
	v_add_f64 v[34:35], v[89:90], v[34:35]
	v_add_f64 v[32:33], v[93:94], v[32:33]
	ds_store_b128 v44, v[8:11] offset:384
	ds_store_b128 v44, v[12:15] offset:432
	;; [unrolled: 1-line block ×9, first 2 shown]
	ds_store_b128 v44, v[32:35]
	ds_store_b128 v44, v[16:19] offset:480
.LBB0_19:
	s_or_b32 exec_lo, exec_lo, s1
	s_waitcnt lgkmcnt(0)
	s_barrier
	buffer_gl0_inv
	ds_load_b128 v[28:31], v189
	ds_load_b128 v[48:51], v189 offset:4224
	ds_load_b128 v[44:47], v189 offset:8448
	;; [unrolled: 1-line block ×6, first 2 shown]
	v_cmp_gt_u32_e64 s0, 33, v60
	v_lshl_add_u32 v66, v64, 4, 0
                                        ; implicit-def: $vgpr26_vgpr27
                                        ; implicit-def: $vgpr22_vgpr23
                                        ; implicit-def: $vgpr6_vgpr7
	s_delay_alu instid0(VALU_DEP_2)
	s_and_saveexec_b32 s1, s0
	s_cbranch_execz .LBB0_21
; %bb.20:
	ds_load_b128 v[0:3], v66
	ds_load_b128 v[8:11], v189 offset:7920
	ds_load_b128 v[12:15], v189 offset:12144
	;; [unrolled: 1-line block ×6, first 2 shown]
.LBB0_21:
	s_or_b32 exec_lo, exec_lo, s1
	v_mul_lo_u16 v61, 0xf9, v61
	s_mov_b32 s10, 0x37e14327
	s_mov_b32 s12, 0xe976ee23
	;; [unrolled: 1-line block ×4, first 2 shown]
	v_lshrrev_b16 v61, 13, v61
	s_mov_b32 s4, 0x429ad128
	s_mov_b32 s5, 0x3febfeb5
	s_mov_b32 s18, 0x36b3c0b5
	s_mov_b32 s19, 0x3fac98ee
	v_mul_lo_u16 v63, v61, 33
	s_mov_b32 s14, 0xaaaaaaaa
	s_mov_b32 s22, 0xb247c609
	;; [unrolled: 1-line block ×4, first 2 shown]
	v_sub_nc_u16 v63, v60, v63
	s_mov_b32 s23, 0x3fd5d0dc
	s_mov_b32 s17, 0x3fe77f67
	;; [unrolled: 1-line block ×4, first 2 shown]
	v_and_b32_e32 v63, 0xff, v63
	s_mov_b32 s20, s16
	s_mov_b32 s24, s22
	s_mov_b32 s26, 0x37c3f68c
	s_mov_b32 s27, 0x3fdc38aa
	v_mul_u32_u24_e32 v65, 6, v63
	v_and_b32_e32 v61, 0xffff, v61
	v_lshlrev_b32_e32 v63, 4, v63
	s_delay_alu instid0(VALU_DEP_3) | instskip(NEXT) | instid1(VALU_DEP_3)
	v_lshlrev_b32_e32 v65, 4, v65
	v_mul_u32_u24_e32 v61, 0xe70, v61
	s_clause 0x5
	global_load_b128 v[67:70], v65, s[8:9] offset:480
	global_load_b128 v[71:74], v65, s[8:9] offset:496
	;; [unrolled: 1-line block ×6, first 2 shown]
	v_add3_u32 v61, 0, v61, v63
	s_waitcnt vmcnt(0) lgkmcnt(0)
	s_barrier
	buffer_gl0_inv
	v_mul_f64 v[91:92], v[50:51], v[69:70]
	v_mul_f64 v[69:70], v[48:49], v[69:70]
	v_mul_f64 v[93:94], v[46:47], v[73:74]
	v_mul_f64 v[73:74], v[44:45], v[73:74]
	v_mul_f64 v[95:96], v[54:55], v[77:78]
	v_mul_f64 v[77:78], v[52:53], v[77:78]
	v_mul_f64 v[97:98], v[42:43], v[81:82]
	v_mul_f64 v[81:82], v[40:41], v[81:82]
	v_mul_f64 v[99:100], v[38:39], v[85:86]
	v_mul_f64 v[85:86], v[36:37], v[85:86]
	v_mul_f64 v[101:102], v[34:35], v[89:90]
	v_mul_f64 v[89:90], v[32:33], v[89:90]
	v_fma_f64 v[48:49], v[48:49], v[67:68], -v[91:92]
	v_fma_f64 v[50:51], v[50:51], v[67:68], v[69:70]
	v_fma_f64 v[44:45], v[44:45], v[71:72], -v[93:94]
	v_fma_f64 v[46:47], v[46:47], v[71:72], v[73:74]
	;; [unrolled: 2-line block ×6, first 2 shown]
	v_add_f64 v[67:68], v[48:49], v[52:53]
	v_add_f64 v[69:70], v[50:51], v[54:55]
	;; [unrolled: 1-line block ×4, first 2 shown]
	v_add_f64 v[40:41], v[44:45], -v[40:41]
	v_add_f64 v[42:43], v[46:47], -v[42:43]
	v_add_f64 v[44:45], v[36:37], v[32:33]
	v_add_f64 v[46:47], v[38:39], v[34:35]
	v_add_f64 v[32:33], v[32:33], -v[36:37]
	v_add_f64 v[34:35], v[34:35], -v[38:39]
	;; [unrolled: 1-line block ×4, first 2 shown]
	v_add_f64 v[48:49], v[71:72], v[67:68]
	v_add_f64 v[50:51], v[73:74], v[69:70]
	v_add_f64 v[52:53], v[67:68], -v[44:45]
	v_add_f64 v[54:55], v[69:70], -v[46:47]
	;; [unrolled: 1-line block ×6, first 2 shown]
	v_add_f64 v[40:41], v[32:33], v[40:41]
	v_add_f64 v[42:43], v[34:35], v[42:43]
	v_add_f64 v[32:33], v[36:37], -v[32:33]
	v_add_f64 v[34:35], v[38:39], -v[34:35]
	;; [unrolled: 1-line block ×4, first 2 shown]
	v_add_f64 v[48:49], v[44:45], v[48:49]
	v_add_f64 v[50:51], v[46:47], v[50:51]
	v_add_f64 v[44:45], v[44:45], -v[71:72]
	v_add_f64 v[46:47], v[46:47], -v[73:74]
	v_mul_f64 v[52:53], v[52:53], s[10:11]
	v_mul_f64 v[54:55], v[54:55], s[10:11]
	;; [unrolled: 1-line block ×6, first 2 shown]
	v_add_f64 v[36:37], v[40:41], v[36:37]
	v_add_f64 v[38:39], v[42:43], v[38:39]
	v_add_f64 v[28:29], v[28:29], v[48:49]
	v_add_f64 v[30:31], v[30:31], v[50:51]
	v_mul_f64 v[71:72], v[44:45], s[18:19]
	v_mul_f64 v[73:74], v[46:47], s[18:19]
	v_fma_f64 v[40:41], v[44:45], s[18:19], v[52:53]
	v_fma_f64 v[42:43], v[46:47], s[18:19], v[54:55]
	;; [unrolled: 1-line block ×4, first 2 shown]
	v_fma_f64 v[75:76], v[79:80], s[4:5], -v[75:76]
	v_fma_f64 v[77:78], v[81:82], s[4:5], -v[77:78]
	;; [unrolled: 1-line block ×6, first 2 shown]
	v_fma_f64 v[48:49], v[48:49], s[14:15], v[28:29]
	v_fma_f64 v[50:51], v[50:51], s[14:15], v[30:31]
	v_fma_f64 v[67:68], v[67:68], s[16:17], -v[71:72]
	v_fma_f64 v[69:70], v[69:70], s[16:17], -v[73:74]
	v_fma_f64 v[71:72], v[36:37], s[26:27], v[44:45]
	v_fma_f64 v[73:74], v[38:39], s[26:27], v[46:47]
	;; [unrolled: 1-line block ×6, first 2 shown]
	v_add_f64 v[79:80], v[40:41], v[48:49]
	v_add_f64 v[81:82], v[42:43], v[50:51]
	;; [unrolled: 1-line block ×7, first 2 shown]
	v_add_f64 v[34:35], v[81:82], -v[71:72]
	v_add_f64 v[36:37], v[77:78], v[52:53]
	v_add_f64 v[38:39], v[54:55], -v[75:76]
	v_add_f64 v[40:41], v[48:49], -v[44:45]
	v_add_f64 v[42:43], v[46:47], v[50:51]
	v_add_f64 v[44:45], v[44:45], v[48:49]
	v_add_f64 v[46:47], v[50:51], -v[46:47]
	v_add_f64 v[48:49], v[52:53], -v[77:78]
	v_add_f64 v[50:51], v[75:76], v[54:55]
	v_add_f64 v[52:53], v[79:80], -v[73:74]
	v_add_f64 v[54:55], v[71:72], v[81:82]
	ds_store_b128 v61, v[28:31]
	ds_store_b128 v61, v[32:35] offset:528
	ds_store_b128 v61, v[36:39] offset:1056
	;; [unrolled: 1-line block ×6, first 2 shown]
	s_and_saveexec_b32 s1, s0
	s_cbranch_execz .LBB0_23
; %bb.22:
	v_and_b32_e32 v28, 0xffff, v64
	s_delay_alu instid0(VALU_DEP_1) | instskip(NEXT) | instid1(VALU_DEP_1)
	v_mul_u32_u24_e32 v28, 0xf83f, v28
	v_lshrrev_b32_e32 v28, 21, v28
	s_delay_alu instid0(VALU_DEP_1) | instskip(NEXT) | instid1(VALU_DEP_1)
	v_mul_lo_u16 v28, v28, 33
	v_sub_nc_u16 v28, v64, v28
	s_delay_alu instid0(VALU_DEP_1) | instskip(NEXT) | instid1(VALU_DEP_1)
	v_and_b32_e32 v61, 0xffff, v28
	v_mul_u32_u24_e32 v28, 6, v61
	s_delay_alu instid0(VALU_DEP_1)
	v_lshlrev_b32_e32 v48, 4, v28
	s_clause 0x5
	global_load_b128 v[28:31], v48, s[8:9] offset:496
	global_load_b128 v[32:35], v48, s[8:9] offset:544
	;; [unrolled: 1-line block ×6, first 2 shown]
	s_waitcnt vmcnt(5)
	v_mul_f64 v[52:53], v[12:13], v[30:31]
	s_waitcnt vmcnt(4)
	v_mul_f64 v[54:55], v[20:21], v[34:35]
	;; [unrolled: 2-line block ×4, first 2 shown]
	v_mul_f64 v[30:31], v[14:15], v[30:31]
	v_mul_f64 v[34:35], v[22:23], v[34:35]
	;; [unrolled: 1-line block ×4, first 2 shown]
	s_waitcnt vmcnt(1)
	v_mul_f64 v[71:72], v[6:7], v[46:47]
	s_waitcnt vmcnt(0)
	v_mul_f64 v[73:74], v[18:19], v[50:51]
	v_mul_f64 v[50:51], v[16:17], v[50:51]
	;; [unrolled: 1-line block ×3, first 2 shown]
	v_fma_f64 v[14:15], v[14:15], v[28:29], v[52:53]
	v_fma_f64 v[22:23], v[22:23], v[32:33], v[54:55]
	;; [unrolled: 1-line block ×4, first 2 shown]
	v_fma_f64 v[12:13], v[12:13], v[28:29], -v[30:31]
	v_fma_f64 v[20:21], v[20:21], v[32:33], -v[34:35]
	v_fma_f64 v[8:9], v[8:9], v[36:37], -v[38:39]
	v_fma_f64 v[24:25], v[24:25], v[40:41], -v[42:43]
	v_fma_f64 v[4:5], v[4:5], v[44:45], -v[71:72]
	v_fma_f64 v[16:17], v[16:17], v[48:49], -v[73:74]
	v_fma_f64 v[18:19], v[18:19], v[48:49], v[50:51]
	v_fma_f64 v[6:7], v[6:7], v[44:45], v[46:47]
	v_add_f64 v[28:29], v[14:15], v[22:23]
	v_add_f64 v[14:15], v[14:15], -v[22:23]
	v_add_f64 v[30:31], v[10:11], v[26:27]
	v_add_f64 v[10:11], v[10:11], -v[26:27]
	;; [unrolled: 2-line block ×4, first 2 shown]
	v_add_f64 v[36:37], v[4:5], -v[16:17]
	v_add_f64 v[4:5], v[16:17], v[4:5]
	v_add_f64 v[20:21], v[18:19], v[6:7]
	v_add_f64 v[6:7], v[6:7], -v[18:19]
	v_add_f64 v[16:17], v[28:29], v[30:31]
	v_add_f64 v[42:43], v[14:15], -v[10:11]
	;; [unrolled: 2-line block ×3, first 2 shown]
	v_add_f64 v[22:23], v[36:37], -v[12:13]
	v_add_f64 v[26:27], v[34:35], -v[4:5]
	;; [unrolled: 1-line block ×4, first 2 shown]
	v_add_f64 v[12:13], v[36:37], v[12:13]
	v_add_f64 v[36:37], v[8:9], -v[36:37]
	v_add_f64 v[14:15], v[6:7], v[14:15]
	v_add_f64 v[6:7], v[10:11], -v[6:7]
	;; [unrolled: 2-line block ×3, first 2 shown]
	v_add_f64 v[28:29], v[28:29], -v[30:31]
	v_mul_f64 v[46:47], v[42:43], s[4:5]
	v_add_f64 v[18:19], v[4:5], v[18:19]
	v_add_f64 v[4:5], v[4:5], -v[32:33]
	v_mul_f64 v[22:23], v[22:23], s[12:13]
	v_mul_f64 v[26:27], v[26:27], s[10:11]
	;; [unrolled: 1-line block ×5, first 2 shown]
	v_add_f64 v[32:33], v[32:33], -v[34:35]
	v_add_f64 v[8:9], v[12:13], v[8:9]
	v_add_f64 v[10:11], v[14:15], v[10:11]
	;; [unrolled: 1-line block ×3, first 2 shown]
	v_mul_f64 v[30:31], v[20:21], s[18:19]
	v_add_f64 v[0:1], v[0:1], v[18:19]
	v_mul_f64 v[34:35], v[4:5], s[18:19]
	v_fma_f64 v[12:13], v[36:37], s[22:23], v[22:23]
	v_fma_f64 v[4:5], v[4:5], s[18:19], v[26:27]
	v_fma_f64 v[14:15], v[20:21], s[18:19], v[24:25]
	v_fma_f64 v[20:21], v[36:37], s[24:25], -v[44:45]
	v_fma_f64 v[22:23], v[38:39], s[4:5], -v[22:23]
	;; [unrolled: 1-line block ×5, first 2 shown]
	v_fma_f64 v[16:17], v[16:17], s[14:15], v[2:3]
	v_fma_f64 v[28:29], v[28:29], s[16:17], -v[30:31]
	v_fma_f64 v[30:31], v[6:7], s[22:23], v[40:41]
	v_fma_f64 v[6:7], v[6:7], s[24:25], -v[46:47]
	;; [unrolled: 2-line block ×3, first 2 shown]
	v_fma_f64 v[12:13], v[8:9], s[26:27], v[12:13]
	v_fma_f64 v[20:21], v[8:9], s[26:27], v[20:21]
	;; [unrolled: 1-line block ×4, first 2 shown]
	v_add_f64 v[34:35], v[14:15], v[16:17]
	v_add_f64 v[22:23], v[24:25], v[16:17]
	;; [unrolled: 1-line block ×3, first 2 shown]
	v_fma_f64 v[28:29], v[10:11], s[26:27], v[30:31]
	v_add_f64 v[4:5], v[4:5], v[18:19]
	v_fma_f64 v[30:31], v[10:11], s[26:27], v[6:7]
	v_add_f64 v[38:39], v[26:27], v[18:19]
	v_add_f64 v[32:33], v[32:33], v[18:19]
	v_add_f64 v[26:27], v[34:35], -v[12:13]
	v_add_f64 v[10:11], v[20:21], v[22:23]
	v_add_f64 v[22:23], v[22:23], -v[20:21]
	v_add_f64 v[14:15], v[16:17], -v[8:9]
	v_add_f64 v[24:25], v[28:29], v[4:5]
	v_add_f64 v[18:19], v[8:9], v[16:17]
	;; [unrolled: 1-line block ×3, first 2 shown]
	v_add_f64 v[16:17], v[32:33], -v[36:37]
	v_add_f64 v[6:7], v[12:13], v[34:35]
	v_add_f64 v[12:13], v[36:37], v[32:33]
	v_add_f64 v[8:9], v[38:39], -v[30:31]
	v_add_f64 v[4:5], v[4:5], -v[28:29]
	v_lshl_add_u32 v28, v61, 4, 0
	ds_store_b128 v28, v[0:3] offset:25872
	ds_store_b128 v28, v[24:27] offset:26400
	;; [unrolled: 1-line block ×7, first 2 shown]
.LBB0_23:
	s_or_b32 exec_lo, exec_lo, s1
	v_mul_u32_u24_e32 v0, 3, v60
	s_waitcnt lgkmcnt(0)
	s_barrier
	buffer_gl0_inv
	v_lshl_add_u32 v16, v62, 4, 0
	v_dual_mov_b32 v61, 0 :: v_dual_lshlrev_b32 v8, 4, v0
	s_add_u32 s1, s8, 0x7350
	s_addc_u32 s4, s9, 0
	s_mov_b32 s5, exec_lo
	s_clause 0x2
	global_load_b128 v[0:3], v8, s[8:9] offset:3648
	global_load_b128 v[4:7], v8, s[8:9] offset:3664
	;; [unrolled: 1-line block ×3, first 2 shown]
	ds_load_b128 v[12:15], v16
	ds_load_b128 v[17:20], v189 offset:14784
	ds_load_b128 v[21:24], v189 offset:22176
	ds_load_b128 v[25:28], v189 offset:11088
	ds_load_b128 v[29:32], v189 offset:18480
	ds_load_b128 v[33:36], v189 offset:25872
	v_mov_b32_e32 v65, v61
	v_mov_b32_e32 v63, v61
	s_waitcnt vmcnt(2) lgkmcnt(5)
	v_mul_f64 v[37:38], v[14:15], v[2:3]
	v_mul_f64 v[39:40], v[12:13], v[2:3]
	s_waitcnt vmcnt(1) lgkmcnt(4)
	v_mul_f64 v[41:42], v[19:20], v[6:7]
	v_mul_f64 v[43:44], v[17:18], v[6:7]
	;; [unrolled: 3-line block ×3, first 2 shown]
	s_waitcnt lgkmcnt(2)
	v_mul_f64 v[49:50], v[27:28], v[2:3]
	v_mul_f64 v[2:3], v[25:26], v[2:3]
	s_waitcnt lgkmcnt(1)
	v_mul_f64 v[51:52], v[31:32], v[6:7]
	v_mul_f64 v[6:7], v[29:30], v[6:7]
	;; [unrolled: 3-line block ×3, first 2 shown]
	v_fma_f64 v[12:13], v[12:13], v[0:1], -v[37:38]
	v_fma_f64 v[14:15], v[14:15], v[0:1], v[39:40]
	v_fma_f64 v[17:18], v[17:18], v[4:5], -v[41:42]
	v_fma_f64 v[19:20], v[19:20], v[4:5], v[43:44]
	;; [unrolled: 2-line block ×6, first 2 shown]
	ds_load_b128 v[0:3], v189
	ds_load_b128 v[4:7], v66
	s_waitcnt lgkmcnt(0)
	s_barrier
	buffer_gl0_inv
	v_add_f64 v[10:11], v[0:1], -v[17:18]
	v_add_f64 v[35:36], v[2:3], -v[19:20]
	;; [unrolled: 1-line block ×8, first 2 shown]
	v_fma_f64 v[0:1], v[0:1], 2.0, -v[10:11]
	v_fma_f64 v[37:38], v[2:3], 2.0, -v[35:36]
	;; [unrolled: 1-line block ×8, first 2 shown]
	v_add_f64 v[4:5], v[10:11], -v[19:20]
	v_add_f64 v[6:7], v[35:36], v[17:18]
	v_add_f64 v[12:13], v[29:30], -v[8:9]
	v_lshlrev_b64 v[8:9], 4, v[62:63]
	v_add_f64 v[17:18], v[0:1], -v[2:3]
	v_add_f64 v[19:20], v[37:38], -v[14:15]
	v_add_f64 v[14:15], v[31:32], v[33:34]
	v_lshlrev_b64 v[2:3], 4, v[60:61]
	v_add_f64 v[21:22], v[39:40], -v[21:22]
	v_add_f64 v[23:24], v[41:42], -v[23:24]
	v_fma_f64 v[25:26], v[10:11], 2.0, -v[4:5]
	v_fma_f64 v[27:28], v[35:36], 2.0, -v[6:7]
	;; [unrolled: 1-line block ×3, first 2 shown]
	v_add_co_u32 v45, s0, s8, v2
	v_lshlrev_b64 v[10:11], 4, v[64:65]
	v_add_co_ci_u32_e64 v46, s0, s9, v3, s0
	v_fma_f64 v[33:34], v[0:1], 2.0, -v[17:18]
	v_fma_f64 v[35:36], v[37:38], 2.0, -v[19:20]
	;; [unrolled: 1-line block ×3, first 2 shown]
	v_add_co_u32 v0, s0, 0x3000, v45
	s_delay_alu instid0(VALU_DEP_1) | instskip(SKIP_3) | instid1(VALU_DEP_1)
	v_add_co_ci_u32_e64 v1, s0, 0, v46, s0
	v_fma_f64 v[37:38], v[39:40], 2.0, -v[21:22]
	v_fma_f64 v[39:40], v[41:42], 2.0, -v[23:24]
	v_add_co_u32 v41, s0, s8, v10
	v_add_co_ci_u32_e64 v42, s0, s9, v11, s0
	v_add_co_u32 v43, s0, s8, v8
	s_delay_alu instid0(VALU_DEP_1) | instskip(NEXT) | instid1(VALU_DEP_4)
	v_add_co_ci_u32_e64 v44, s0, s9, v9, s0
	v_add_co_u32 v41, s0, 0x3000, v41
	s_delay_alu instid0(VALU_DEP_1) | instskip(NEXT) | instid1(VALU_DEP_4)
	v_add_co_ci_u32_e64 v42, s0, 0, v42, s0
	v_add_co_u32 v43, s0, 0x3000, v43
	s_delay_alu instid0(VALU_DEP_1)
	v_add_co_ci_u32_e64 v44, s0, 0, v44, s0
	ds_store_b128 v189, v[17:20] offset:7392
	ds_store_b128 v189, v[4:7] offset:11088
	;; [unrolled: 1-line block ×4, first 2 shown]
	ds_store_b128 v189, v[33:36]
	ds_store_b128 v189, v[25:28] offset:3696
	ds_store_b128 v189, v[37:40] offset:14784
	;; [unrolled: 1-line block ×3, first 2 shown]
	s_waitcnt lgkmcnt(0)
	s_barrier
	buffer_gl0_inv
	global_load_b128 v[4:7], v[0:1], off offset:2448
	v_add_co_u32 v0, s0, 0x6000, v45
	s_delay_alu instid0(VALU_DEP_1)
	v_add_co_ci_u32_e64 v1, s0, 0, v46, s0
	s_clause 0x2
	global_load_b128 v[12:15], v[41:42], off offset:2448
	global_load_b128 v[17:20], v[43:44], off offset:2448
	;; [unrolled: 1-line block ×3, first 2 shown]
	ds_load_b128 v[25:28], v189 offset:14784
	ds_load_b128 v[29:32], v189 offset:18480
	;; [unrolled: 1-line block ×4, first 2 shown]
	s_waitcnt vmcnt(3) lgkmcnt(3)
	v_mul_f64 v[0:1], v[27:28], v[6:7]
	v_mul_f64 v[6:7], v[25:26], v[6:7]
	s_waitcnt vmcnt(2) lgkmcnt(2)
	v_mul_f64 v[41:42], v[31:32], v[14:15]
	v_mul_f64 v[14:15], v[29:30], v[14:15]
	;; [unrolled: 3-line block ×4, first 2 shown]
	v_fma_f64 v[0:1], v[25:26], v[4:5], -v[0:1]
	v_fma_f64 v[27:28], v[27:28], v[4:5], v[6:7]
	v_fma_f64 v[29:30], v[29:30], v[12:13], -v[41:42]
	v_fma_f64 v[31:32], v[31:32], v[12:13], v[14:15]
	v_fma_f64 v[33:34], v[33:34], v[17:18], -v[43:44]
	v_fma_f64 v[35:36], v[35:36], v[17:18], v[19:20]
	v_fma_f64 v[37:38], v[37:38], v[21:22], -v[45:46]
	v_fma_f64 v[39:40], v[39:40], v[21:22], v[23:24]
	ds_load_b128 v[4:7], v189
	ds_load_b128 v[12:15], v66
	ds_load_b128 v[17:20], v16
	ds_load_b128 v[21:24], v189 offset:11088
	s_waitcnt lgkmcnt(0)
	s_barrier
	buffer_gl0_inv
	v_add_f64 v[25:26], v[4:5], -v[0:1]
	v_lshlrev_b32_e32 v0, 4, v60
	v_add_f64 v[27:28], v[6:7], -v[27:28]
	v_add_f64 v[29:30], v[12:13], -v[29:30]
	;; [unrolled: 1-line block ×7, first 2 shown]
	v_fma_f64 v[4:5], v[4:5], 2.0, -v[25:26]
	v_fma_f64 v[6:7], v[6:7], 2.0, -v[27:28]
	;; [unrolled: 1-line block ×8, first 2 shown]
	ds_store_b128 v189, v[4:7]
	ds_store_b128 v189, v[25:28] offset:14784
	ds_store_b128 v66, v[12:15]
	ds_store_b128 v66, v[29:32] offset:14784
	;; [unrolled: 2-line block ×3, first 2 shown]
	ds_store_b128 v189, v[21:24] offset:11088
	ds_store_b128 v189, v[37:40] offset:25872
	s_waitcnt lgkmcnt(0)
	s_barrier
	buffer_gl0_inv
	ds_load_b128 v[4:7], v189
	v_sub_nc_u32_e32 v17, 0, v0
                                        ; implicit-def: $vgpr0_vgpr1
                                        ; implicit-def: $vgpr12_vgpr13
                                        ; implicit-def: $vgpr14_vgpr15
	v_cmpx_ne_u32_e32 0, v60
	s_xor_b32 s5, exec_lo, s5
	s_cbranch_execz .LBB0_25
; %bb.24:
	v_add_co_u32 v0, s0, s1, v2
	s_delay_alu instid0(VALU_DEP_1)
	v_add_co_ci_u32_e64 v1, s0, s4, v3, s0
	global_load_b128 v[18:21], v[0:1], off
	ds_load_b128 v[0:3], v17 offset:29568
	s_waitcnt lgkmcnt(0)
	v_add_f64 v[12:13], v[4:5], -v[0:1]
	v_add_f64 v[14:15], v[6:7], v[2:3]
	v_add_f64 v[2:3], v[6:7], -v[2:3]
	v_add_f64 v[0:1], v[4:5], v[0:1]
	s_delay_alu instid0(VALU_DEP_4) | instskip(NEXT) | instid1(VALU_DEP_4)
	v_mul_f64 v[6:7], v[12:13], 0.5
	v_mul_f64 v[4:5], v[14:15], 0.5
	s_delay_alu instid0(VALU_DEP_4) | instskip(SKIP_1) | instid1(VALU_DEP_3)
	v_mul_f64 v[2:3], v[2:3], 0.5
	s_waitcnt vmcnt(0)
	v_mul_f64 v[12:13], v[6:7], v[20:21]
	s_delay_alu instid0(VALU_DEP_2) | instskip(SKIP_1) | instid1(VALU_DEP_3)
	v_fma_f64 v[14:15], v[4:5], v[20:21], v[2:3]
	v_fma_f64 v[2:3], v[4:5], v[20:21], -v[2:3]
	v_fma_f64 v[22:23], v[0:1], 0.5, v[12:13]
	v_fma_f64 v[0:1], v[0:1], 0.5, -v[12:13]
	s_delay_alu instid0(VALU_DEP_4) | instskip(NEXT) | instid1(VALU_DEP_4)
	v_fma_f64 v[14:15], -v[18:19], v[6:7], v[14:15]
	v_fma_f64 v[2:3], -v[18:19], v[6:7], v[2:3]
	s_delay_alu instid0(VALU_DEP_4) | instskip(NEXT) | instid1(VALU_DEP_4)
	v_fma_f64 v[12:13], v[4:5], v[18:19], v[22:23]
	v_fma_f64 v[0:1], -v[4:5], v[18:19], v[0:1]
                                        ; implicit-def: $vgpr4_vgpr5
.LBB0_25:
	s_and_not1_saveexec_b32 s0, s5
	s_cbranch_execz .LBB0_27
; %bb.26:
	s_waitcnt lgkmcnt(0)
	v_add_f64 v[12:13], v[4:5], v[6:7]
	v_add_f64 v[0:1], v[4:5], -v[6:7]
	v_mov_b32_e32 v6, 0
	v_mov_b32_e32 v14, 0
	;; [unrolled: 1-line block ×3, first 2 shown]
	s_delay_alu instid0(VALU_DEP_2)
	v_mov_b32_e32 v2, v14
	ds_load_b64 v[4:5], v6 offset:14792
	v_mov_b32_e32 v3, v15
	s_waitcnt lgkmcnt(0)
	v_xor_b32_e32 v5, 0x80000000, v5
	ds_store_b64 v6, v[4:5] offset:14792
.LBB0_27:
	s_or_b32 exec_lo, exec_lo, s0
	s_waitcnt lgkmcnt(0)
	v_add_co_u32 v4, s0, s1, v10
	s_delay_alu instid0(VALU_DEP_1) | instskip(SKIP_1) | instid1(VALU_DEP_1)
	v_add_co_ci_u32_e64 v5, s0, s4, v11, s0
	v_add_co_u32 v8, s0, s1, v8
	v_add_co_ci_u32_e64 v9, s0, s4, v9, s0
	s_clause 0x1
	global_load_b128 v[4:7], v[4:5], off
	global_load_b128 v[8:11], v[8:9], off
	ds_store_2addr_b64 v189, v[12:13], v[14:15] offset1:1
	ds_store_b128 v17, v[0:3] offset:29568
	ds_load_b128 v[0:3], v66
	ds_load_b128 v[12:15], v17 offset:25872
	s_waitcnt lgkmcnt(0)
	v_add_f64 v[18:19], v[0:1], -v[12:13]
	v_add_f64 v[20:21], v[2:3], v[14:15]
	v_add_f64 v[2:3], v[2:3], -v[14:15]
	v_add_f64 v[0:1], v[0:1], v[12:13]
	s_delay_alu instid0(VALU_DEP_4) | instskip(NEXT) | instid1(VALU_DEP_4)
	v_mul_f64 v[14:15], v[18:19], 0.5
	v_mul_f64 v[18:19], v[20:21], 0.5
	s_delay_alu instid0(VALU_DEP_4) | instskip(SKIP_1) | instid1(VALU_DEP_3)
	v_mul_f64 v[2:3], v[2:3], 0.5
	s_waitcnt vmcnt(1)
	v_mul_f64 v[12:13], v[14:15], v[6:7]
	s_delay_alu instid0(VALU_DEP_2) | instskip(SKIP_1) | instid1(VALU_DEP_3)
	v_fma_f64 v[20:21], v[18:19], v[6:7], v[2:3]
	v_fma_f64 v[2:3], v[18:19], v[6:7], -v[2:3]
	v_fma_f64 v[22:23], v[0:1], 0.5, v[12:13]
	v_fma_f64 v[0:1], v[0:1], 0.5, -v[12:13]
	s_delay_alu instid0(VALU_DEP_4) | instskip(NEXT) | instid1(VALU_DEP_4)
	v_fma_f64 v[20:21], -v[4:5], v[14:15], v[20:21]
	v_fma_f64 v[6:7], -v[4:5], v[14:15], v[2:3]
	s_delay_alu instid0(VALU_DEP_4) | instskip(NEXT) | instid1(VALU_DEP_4)
	v_fma_f64 v[2:3], v[18:19], v[4:5], v[22:23]
	v_fma_f64 v[4:5], -v[18:19], v[4:5], v[0:1]
	v_dual_mov_b32 v1, 0 :: v_dual_add_nc_u32 v0, 0x2b5, v60
	s_delay_alu instid0(VALU_DEP_1) | instskip(SKIP_1) | instid1(VALU_DEP_2)
	v_lshlrev_b64 v[12:13], 4, v[0:1]
	v_add_nc_u32_e32 v0, 0x2800, v189
	v_add_co_u32 v12, s0, s1, v12
	s_delay_alu instid0(VALU_DEP_1)
	v_add_co_ci_u32_e64 v13, s0, s4, v13, s0
	global_load_b128 v[12:15], v[12:13], off
	ds_store_2addr_b64 v66, v[2:3], v[20:21] offset1:1
	ds_store_b128 v17, v[4:7] offset:25872
	ds_load_b128 v[2:5], v16
	ds_load_b128 v[18:21], v17 offset:22176
	s_waitcnt lgkmcnt(0)
	v_add_f64 v[6:7], v[2:3], -v[18:19]
	v_add_f64 v[22:23], v[4:5], v[20:21]
	v_add_f64 v[4:5], v[4:5], -v[20:21]
	v_add_f64 v[2:3], v[2:3], v[18:19]
	s_delay_alu instid0(VALU_DEP_4) | instskip(NEXT) | instid1(VALU_DEP_4)
	v_mul_f64 v[6:7], v[6:7], 0.5
	v_mul_f64 v[20:21], v[22:23], 0.5
	s_delay_alu instid0(VALU_DEP_4) | instskip(SKIP_1) | instid1(VALU_DEP_3)
	v_mul_f64 v[4:5], v[4:5], 0.5
	s_waitcnt vmcnt(1)
	v_mul_f64 v[18:19], v[6:7], v[10:11]
	s_delay_alu instid0(VALU_DEP_2) | instskip(SKIP_1) | instid1(VALU_DEP_3)
	v_fma_f64 v[22:23], v[20:21], v[10:11], v[4:5]
	v_fma_f64 v[4:5], v[20:21], v[10:11], -v[4:5]
	v_fma_f64 v[10:11], v[2:3], 0.5, v[18:19]
	v_fma_f64 v[2:3], v[2:3], 0.5, -v[18:19]
	s_delay_alu instid0(VALU_DEP_4) | instskip(NEXT) | instid1(VALU_DEP_4)
	v_fma_f64 v[18:19], -v[8:9], v[6:7], v[22:23]
	v_fma_f64 v[4:5], -v[8:9], v[6:7], v[4:5]
	s_delay_alu instid0(VALU_DEP_4) | instskip(NEXT) | instid1(VALU_DEP_4)
	v_fma_f64 v[6:7], v[20:21], v[8:9], v[10:11]
	v_fma_f64 v[2:3], -v[20:21], v[8:9], v[2:3]
	ds_store_2addr_b64 v16, v[6:7], v[18:19] offset1:1
	ds_store_b128 v17, v[2:5] offset:22176
	ds_load_b128 v[2:5], v189 offset:11088
	ds_load_b128 v[6:9], v17 offset:18480
	s_waitcnt lgkmcnt(0)
	v_add_f64 v[10:11], v[2:3], -v[6:7]
	v_add_f64 v[18:19], v[4:5], v[8:9]
	v_add_f64 v[4:5], v[4:5], -v[8:9]
	v_add_f64 v[2:3], v[2:3], v[6:7]
	s_delay_alu instid0(VALU_DEP_4) | instskip(NEXT) | instid1(VALU_DEP_4)
	v_mul_f64 v[8:9], v[10:11], 0.5
	v_mul_f64 v[10:11], v[18:19], 0.5
	s_delay_alu instid0(VALU_DEP_4) | instskip(SKIP_1) | instid1(VALU_DEP_3)
	v_mul_f64 v[4:5], v[4:5], 0.5
	s_waitcnt vmcnt(0)
	v_mul_f64 v[6:7], v[8:9], v[14:15]
	s_delay_alu instid0(VALU_DEP_2) | instskip(SKIP_1) | instid1(VALU_DEP_3)
	v_fma_f64 v[18:19], v[10:11], v[14:15], v[4:5]
	v_fma_f64 v[4:5], v[10:11], v[14:15], -v[4:5]
	v_fma_f64 v[14:15], v[2:3], 0.5, v[6:7]
	v_fma_f64 v[2:3], v[2:3], 0.5, -v[6:7]
	s_delay_alu instid0(VALU_DEP_4) | instskip(NEXT) | instid1(VALU_DEP_4)
	v_fma_f64 v[6:7], -v[12:13], v[8:9], v[18:19]
	v_fma_f64 v[4:5], -v[12:13], v[8:9], v[4:5]
	s_delay_alu instid0(VALU_DEP_4) | instskip(NEXT) | instid1(VALU_DEP_4)
	v_fma_f64 v[8:9], v[10:11], v[12:13], v[14:15]
	v_fma_f64 v[2:3], -v[10:11], v[12:13], v[2:3]
	ds_store_2addr_b64 v0, v[8:9], v[6:7] offset0:106 offset1:107
	ds_store_b128 v17, v[2:5] offset:18480
	s_waitcnt lgkmcnt(0)
	s_barrier
	buffer_gl0_inv
	s_and_saveexec_b32 s0, vcc_lo
	s_cbranch_execz .LBB0_30
; %bb.28:
	v_mul_lo_u32 v0, s3, v58
	v_mul_lo_u32 v4, s2, v59
	v_mad_u64_u32 v[2:3], null, s2, v58, 0
	v_mov_b32_e32 v61, v1
	v_lshl_add_u32 v30, v60, 4, 0
	v_lshlrev_b64 v[20:21], 4, v[56:57]
	s_delay_alu instid0(VALU_DEP_4)
	v_add3_u32 v3, v3, v4, v0
	v_add_nc_u32_e32 v0, 0xe7, v60
	ds_load_b128 v[4:7], v30
	ds_load_b128 v[8:11], v30 offset:3696
	ds_load_b128 v[12:15], v30 offset:7392
	;; [unrolled: 1-line block ×3, first 2 shown]
	v_lshlrev_b64 v[22:23], 4, v[60:61]
	v_lshlrev_b64 v[2:3], 4, v[2:3]
	;; [unrolled: 1-line block ×3, first 2 shown]
	v_add_nc_u32_e32 v0, 0x1ce, v60
	s_delay_alu instid0(VALU_DEP_3) | instskip(NEXT) | instid1(VALU_DEP_4)
	v_add_co_u32 v2, vcc_lo, s6, v2
	v_add_co_ci_u32_e32 v3, vcc_lo, s7, v3, vcc_lo
	s_delay_alu instid0(VALU_DEP_2) | instskip(NEXT) | instid1(VALU_DEP_2)
	v_add_co_u32 v2, vcc_lo, v2, v20
	v_add_co_ci_u32_e32 v3, vcc_lo, v3, v21, vcc_lo
	v_lshlrev_b64 v[20:21], 4, v[0:1]
	v_add_nc_u32_e32 v0, 0x2b5, v60
	s_delay_alu instid0(VALU_DEP_4) | instskip(NEXT) | instid1(VALU_DEP_4)
	v_add_co_u32 v22, vcc_lo, v2, v22
	v_add_co_ci_u32_e32 v23, vcc_lo, v3, v23, vcc_lo
	v_add_co_u32 v24, vcc_lo, v2, v24
	s_delay_alu instid0(VALU_DEP_4) | instskip(SKIP_4) | instid1(VALU_DEP_4)
	v_lshlrev_b64 v[26:27], 4, v[0:1]
	v_add_nc_u32_e32 v0, 0x39c, v60
	v_add_co_ci_u32_e32 v25, vcc_lo, v3, v25, vcc_lo
	v_add_co_u32 v20, vcc_lo, v2, v20
	v_add_co_ci_u32_e32 v21, vcc_lo, v3, v21, vcc_lo
	v_lshlrev_b64 v[28:29], 4, v[0:1]
	v_add_nc_u32_e32 v0, 0x483, v60
	v_add_co_u32 v26, vcc_lo, v2, v26
	v_add_co_ci_u32_e32 v27, vcc_lo, v3, v27, vcc_lo
	s_waitcnt lgkmcnt(3)
	global_store_b128 v[22:23], v[4:7], off
	s_waitcnt lgkmcnt(2)
	global_store_b128 v[24:25], v[8:11], off
	;; [unrolled: 2-line block ×4, first 2 shown]
	v_lshlrev_b64 v[22:23], 4, v[0:1]
	v_add_nc_u32_e32 v0, 0x56a, v60
	ds_load_b128 v[4:7], v30 offset:14784
	ds_load_b128 v[8:11], v30 offset:18480
	;; [unrolled: 1-line block ×4, first 2 shown]
	v_add_co_u32 v20, vcc_lo, v2, v28
	v_add_co_ci_u32_e32 v21, vcc_lo, v3, v29, vcc_lo
	v_lshlrev_b64 v[24:25], 4, v[0:1]
	v_add_nc_u32_e32 v0, 0x651, v60
	v_add_co_u32 v22, vcc_lo, v2, v22
	v_add_co_ci_u32_e32 v23, vcc_lo, v3, v23, vcc_lo
	s_delay_alu instid0(VALU_DEP_3) | instskip(SKIP_2) | instid1(VALU_DEP_3)
	v_lshlrev_b64 v[0:1], 4, v[0:1]
	v_add_co_u32 v24, vcc_lo, v2, v24
	v_add_co_ci_u32_e32 v25, vcc_lo, v3, v25, vcc_lo
	v_add_co_u32 v0, vcc_lo, v2, v0
	s_delay_alu instid0(VALU_DEP_4)
	v_add_co_ci_u32_e32 v1, vcc_lo, v3, v1, vcc_lo
	v_cmp_eq_u32_e32 vcc_lo, 0xe6, v60
	s_waitcnt lgkmcnt(3)
	global_store_b128 v[20:21], v[4:7], off
	s_waitcnt lgkmcnt(2)
	global_store_b128 v[22:23], v[8:11], off
	;; [unrolled: 2-line block ×4, first 2 shown]
	s_and_b32 exec_lo, exec_lo, vcc_lo
	s_cbranch_execz .LBB0_30
; %bb.29:
	v_mov_b32_e32 v0, 0
	ds_load_b128 v[4:7], v0 offset:29568
	v_add_co_u32 v0, vcc_lo, 0x7000, v2
	v_add_co_ci_u32_e32 v1, vcc_lo, 0, v3, vcc_lo
	s_waitcnt lgkmcnt(0)
	global_store_b128 v[0:1], v[4:7], off offset:896
.LBB0_30:
	s_nop 0
	s_sendmsg sendmsg(MSG_DEALLOC_VGPRS)
	s_endpgm
	.section	.rodata,"a",@progbits
	.p2align	6, 0x0
	.amdhsa_kernel fft_rtc_fwd_len1848_factors_3_11_7_4_2_wgs_231_tpt_231_halfLds_dp_op_CI_CI_unitstride_sbrr_R2C_dirReg
		.amdhsa_group_segment_fixed_size 0
		.amdhsa_private_segment_fixed_size 0
		.amdhsa_kernarg_size 104
		.amdhsa_user_sgpr_count 15
		.amdhsa_user_sgpr_dispatch_ptr 0
		.amdhsa_user_sgpr_queue_ptr 0
		.amdhsa_user_sgpr_kernarg_segment_ptr 1
		.amdhsa_user_sgpr_dispatch_id 0
		.amdhsa_user_sgpr_private_segment_size 0
		.amdhsa_wavefront_size32 1
		.amdhsa_uses_dynamic_stack 0
		.amdhsa_enable_private_segment 0
		.amdhsa_system_sgpr_workgroup_id_x 1
		.amdhsa_system_sgpr_workgroup_id_y 0
		.amdhsa_system_sgpr_workgroup_id_z 0
		.amdhsa_system_sgpr_workgroup_info 0
		.amdhsa_system_vgpr_workitem_id 0
		.amdhsa_next_free_vgpr 217
		.amdhsa_next_free_sgpr 38
		.amdhsa_reserve_vcc 1
		.amdhsa_float_round_mode_32 0
		.amdhsa_float_round_mode_16_64 0
		.amdhsa_float_denorm_mode_32 3
		.amdhsa_float_denorm_mode_16_64 3
		.amdhsa_dx10_clamp 1
		.amdhsa_ieee_mode 1
		.amdhsa_fp16_overflow 0
		.amdhsa_workgroup_processor_mode 1
		.amdhsa_memory_ordered 1
		.amdhsa_forward_progress 0
		.amdhsa_shared_vgpr_count 0
		.amdhsa_exception_fp_ieee_invalid_op 0
		.amdhsa_exception_fp_denorm_src 0
		.amdhsa_exception_fp_ieee_div_zero 0
		.amdhsa_exception_fp_ieee_overflow 0
		.amdhsa_exception_fp_ieee_underflow 0
		.amdhsa_exception_fp_ieee_inexact 0
		.amdhsa_exception_int_div_zero 0
	.end_amdhsa_kernel
	.text
.Lfunc_end0:
	.size	fft_rtc_fwd_len1848_factors_3_11_7_4_2_wgs_231_tpt_231_halfLds_dp_op_CI_CI_unitstride_sbrr_R2C_dirReg, .Lfunc_end0-fft_rtc_fwd_len1848_factors_3_11_7_4_2_wgs_231_tpt_231_halfLds_dp_op_CI_CI_unitstride_sbrr_R2C_dirReg
                                        ; -- End function
	.section	.AMDGPU.csdata,"",@progbits
; Kernel info:
; codeLenInByte = 11424
; NumSgprs: 40
; NumVgprs: 217
; ScratchSize: 0
; MemoryBound: 0
; FloatMode: 240
; IeeeMode: 1
; LDSByteSize: 0 bytes/workgroup (compile time only)
; SGPRBlocks: 4
; VGPRBlocks: 27
; NumSGPRsForWavesPerEU: 40
; NumVGPRsForWavesPerEU: 217
; Occupancy: 6
; WaveLimiterHint : 1
; COMPUTE_PGM_RSRC2:SCRATCH_EN: 0
; COMPUTE_PGM_RSRC2:USER_SGPR: 15
; COMPUTE_PGM_RSRC2:TRAP_HANDLER: 0
; COMPUTE_PGM_RSRC2:TGID_X_EN: 1
; COMPUTE_PGM_RSRC2:TGID_Y_EN: 0
; COMPUTE_PGM_RSRC2:TGID_Z_EN: 0
; COMPUTE_PGM_RSRC2:TIDIG_COMP_CNT: 0
	.text
	.p2alignl 7, 3214868480
	.fill 96, 4, 3214868480
	.type	__hip_cuid_c5ec0308887a5c7b,@object ; @__hip_cuid_c5ec0308887a5c7b
	.section	.bss,"aw",@nobits
	.globl	__hip_cuid_c5ec0308887a5c7b
__hip_cuid_c5ec0308887a5c7b:
	.byte	0                               ; 0x0
	.size	__hip_cuid_c5ec0308887a5c7b, 1

	.ident	"AMD clang version 19.0.0git (https://github.com/RadeonOpenCompute/llvm-project roc-6.4.0 25133 c7fe45cf4b819c5991fe208aaa96edf142730f1d)"
	.section	".note.GNU-stack","",@progbits
	.addrsig
	.addrsig_sym __hip_cuid_c5ec0308887a5c7b
	.amdgpu_metadata
---
amdhsa.kernels:
  - .args:
      - .actual_access:  read_only
        .address_space:  global
        .offset:         0
        .size:           8
        .value_kind:     global_buffer
      - .offset:         8
        .size:           8
        .value_kind:     by_value
      - .actual_access:  read_only
        .address_space:  global
        .offset:         16
        .size:           8
        .value_kind:     global_buffer
      - .actual_access:  read_only
        .address_space:  global
        .offset:         24
        .size:           8
        .value_kind:     global_buffer
      - .actual_access:  read_only
        .address_space:  global
        .offset:         32
        .size:           8
        .value_kind:     global_buffer
      - .offset:         40
        .size:           8
        .value_kind:     by_value
      - .actual_access:  read_only
        .address_space:  global
        .offset:         48
        .size:           8
        .value_kind:     global_buffer
      - .actual_access:  read_only
        .address_space:  global
        .offset:         56
        .size:           8
        .value_kind:     global_buffer
      - .offset:         64
        .size:           4
        .value_kind:     by_value
      - .actual_access:  read_only
        .address_space:  global
        .offset:         72
        .size:           8
        .value_kind:     global_buffer
      - .actual_access:  read_only
        .address_space:  global
        .offset:         80
        .size:           8
        .value_kind:     global_buffer
      - .actual_access:  read_only
        .address_space:  global
        .offset:         88
        .size:           8
        .value_kind:     global_buffer
      - .actual_access:  write_only
        .address_space:  global
        .offset:         96
        .size:           8
        .value_kind:     global_buffer
    .group_segment_fixed_size: 0
    .kernarg_segment_align: 8
    .kernarg_segment_size: 104
    .language:       OpenCL C
    .language_version:
      - 2
      - 0
    .max_flat_workgroup_size: 231
    .name:           fft_rtc_fwd_len1848_factors_3_11_7_4_2_wgs_231_tpt_231_halfLds_dp_op_CI_CI_unitstride_sbrr_R2C_dirReg
    .private_segment_fixed_size: 0
    .sgpr_count:     40
    .sgpr_spill_count: 0
    .symbol:         fft_rtc_fwd_len1848_factors_3_11_7_4_2_wgs_231_tpt_231_halfLds_dp_op_CI_CI_unitstride_sbrr_R2C_dirReg.kd
    .uniform_work_group_size: 1
    .uses_dynamic_stack: false
    .vgpr_count:     217
    .vgpr_spill_count: 0
    .wavefront_size: 32
    .workgroup_processor_mode: 1
amdhsa.target:   amdgcn-amd-amdhsa--gfx1100
amdhsa.version:
  - 1
  - 2
...

	.end_amdgpu_metadata
